;; amdgpu-corpus repo=zjin-lcf/HeCBench kind=compiled arch=gfx1250 opt=O3
	.amdgcn_target "amdgcn-amd-amdhsa--gfx1250"
	.amdhsa_code_object_version 6
	.text
	.protected	_Z2nePK15HIP_vector_typeIfLj3EEPS_IfLj4EEiii ; -- Begin function _Z2nePK15HIP_vector_typeIfLj3EEPS_IfLj4EEiii
	.globl	_Z2nePK15HIP_vector_typeIfLj3EEPS_IfLj4EEiii
	.p2align	8
	.type	_Z2nePK15HIP_vector_typeIfLj3EEPS_IfLj4EEiii,@function
_Z2nePK15HIP_vector_typeIfLj3EEPS_IfLj4EEiii: ; @_Z2nePK15HIP_vector_typeIfLj3EEPS_IfLj4EEiii
; %bb.0:
	s_clause 0x1
	s_load_b32 s2, s[0:1], 0x2c
	s_load_b96 s[4:6], s[0:1], 0x10
	s_bfe_u32 s3, ttmp6, 0x4000c
	s_and_b32 s7, ttmp6, 15
	s_add_co_i32 s3, s3, 1
	s_getreg_b32 s8, hwreg(HW_REG_IB_STS2, 6, 4)
	s_mul_i32 s3, ttmp9, s3
	s_delay_alu instid0(SALU_CYCLE_1) | instskip(SKIP_4) | instid1(SALU_CYCLE_1)
	s_add_co_i32 s7, s7, s3
	s_wait_kmcnt 0x0
	s_and_b32 s2, s2, 0xffff
	s_cmp_eq_u32 s8, 0
	s_cselect_b32 s3, ttmp9, s7
	v_mad_u32 v8, s3, s2, v0
	s_mov_b32 s2, exec_lo
	s_delay_alu instid0(VALU_DEP_1)
	v_cmpx_gt_i32_e64 s6, v8
	s_cbranch_execz .LBB0_36
; %bb.1:
	s_load_b64 s[2:3], s[0:1], 0x0
	v_dual_mov_b32 v0, 0 :: v_dual_ashrrev_i32 v9, 31, v8
	v_dual_mov_b32 v1, 0 :: v_dual_mov_b32 v2, 0
	v_mov_b32_e32 v3, 0
	s_mov_b32 s6, exec_lo
	s_wait_kmcnt 0x0
	global_load_b96 v[4:6], v8, s[2:3] scale_offset
	s_wait_loadcnt 0x0
	v_cmpx_o_f32_e32 v6, v6
	s_cbranch_execz .LBB0_35
; %bb.2:
	s_abs_i32 s7, s4
	s_delay_alu instid0(SALU_CYCLE_1) | instskip(SKIP_1) | instid1(SALU_CYCLE_2)
	s_cvt_f32_u32 s8, s7
	s_sub_co_i32 s9, 0, s7
	v_rcp_iflag_f32_e32 v0, s8
	v_nop
	s_delay_alu instid0(TRANS32_DEP_1) | instskip(SKIP_2) | instid1(VALU_DEP_1)
	v_readfirstlane_b32 s8, v0
	v_sub_nc_u32_e32 v0, 0, v8
	s_mul_f32 s8, s8, 0x4f7ffffe
	v_max_i32_e32 v0, v8, v0
	s_delay_alu instid0(SALU_CYCLE_2) | instskip(NEXT) | instid1(SALU_CYCLE_3)
	s_cvt_u32_f32 s8, s8
	s_mul_i32 s9, s9, s8
	s_delay_alu instid0(SALU_CYCLE_1) | instskip(NEXT) | instid1(SALU_CYCLE_1)
	s_mul_hi_u32 s9, s8, s9
	s_add_co_i32 s8, s8, s9
	s_mov_b32 s9, exec_lo
	v_mul_hi_u32 v1, v0, s8
	s_mov_b32 s8, 0
	s_delay_alu instid0(VALU_DEP_1) | instskip(NEXT) | instid1(VALU_DEP_1)
	v_mul_lo_u32 v2, v1, s7
	v_dual_sub_nc_u32 v0, v0, v2 :: v_dual_add_nc_u32 v2, 1, v1
	s_delay_alu instid0(VALU_DEP_1) | instskip(NEXT) | instid1(VALU_DEP_2)
	v_cmp_le_u32_e32 vcc_lo, s7, v0
	v_dual_cndmask_b32 v1, v1, v2, vcc_lo :: v_dual_bitop2_b32 v2, s4, v8 bitop3:0x14
	v_subrev_nc_u32_e32 v3, s7, v0
	s_delay_alu instid0(VALU_DEP_1) | instskip(NEXT) | instid1(VALU_DEP_1)
	v_dual_cndmask_b32 v0, v0, v3 :: v_dual_add_nc_u32 v3, 1, v1
	v_cmp_le_u32_e32 vcc_lo, s7, v0
	s_delay_alu instid0(VALU_DEP_4) | instskip(SKIP_1) | instid1(VALU_DEP_3)
	v_ashrrev_i32_e32 v2, 31, v2
	s_mov_b32 s7, 0
	v_cndmask_b32_e32 v0, v1, v3, vcc_lo
	s_delay_alu instid0(VALU_DEP_1) | instskip(NEXT) | instid1(VALU_DEP_1)
	v_xor_b32_e32 v0, v0, v2
	v_sub_nc_u32_e32 v2, v0, v2
	v_mad_nc_i64_i32 v[0:1], v8, 12, s[2:3]
	s_delay_alu instid0(VALU_DEP_2) | instskip(NEXT) | instid1(VALU_DEP_1)
	v_mul_lo_u32 v3, v2, s4
	v_sub_nc_u32_e32 v3, v8, v3
	s_delay_alu instid0(VALU_DEP_1)
	v_cmpx_lt_i32_e32 1, v3
	s_cbranch_execz .LBB0_6
; %bb.3:
	global_load_b32 v7, v[0:1], off offset:-4
	s_mov_b32 s10, exec_lo
	s_wait_loadcnt 0x0
	v_cmpx_o_f32_e32 v7, v7
; %bb.4:
	v_sub_f32_e32 v7, v7, v6
	s_delay_alu instid0(VALU_DEP_1)
	v_cmp_gt_f32_e64 s8, 0x43480000, |v7|
	s_and_b32 s8, s8, exec_lo
; %bb.5:
	s_or_b32 exec_lo, exec_lo, s10
	s_delay_alu instid0(SALU_CYCLE_1)
	s_and_b32 s8, s8, exec_lo
.LBB0_6:
	s_or_b32 exec_lo, exec_lo, s9
	s_add_co_i32 s9, s4, -1
	s_delay_alu instid0(SALU_CYCLE_1)
	v_cmp_gt_i32_e32 vcc_lo, s9, v3
	s_and_saveexec_b32 s9, vcc_lo
	s_cbranch_execz .LBB0_10
; %bb.7:
	global_load_b32 v3, v[0:1], off offset:20
	s_mov_b32 s10, exec_lo
	s_wait_loadcnt 0x0
	v_cmpx_o_f32_e32 v3, v3
; %bb.8:
	v_sub_f32_e32 v3, v3, v6
	s_delay_alu instid0(VALU_DEP_1)
	v_cmp_gt_f32_e64 s7, 0x43480000, |v3|
	s_and_b32 s7, s7, exec_lo
; %bb.9:
	s_or_b32 exec_lo, exec_lo, s10
	s_delay_alu instid0(SALU_CYCLE_1)
	s_and_b32 s7, s7, exec_lo
.LBB0_10:
	s_or_b32 exec_lo, exec_lo, s9
	v_subrev_nc_u32_e32 v7, s4, v8
	s_mov_b32 s10, 0
	s_mov_b32 s9, 0
	s_mov_b32 s11, exec_lo
	v_cmpx_lt_i32_e32 1, v2
	s_cbranch_execz .LBB0_14
; %bb.11:
	v_mad_nc_i64_i32 v[10:11], v7, 12, s[2:3]
	s_mov_b32 s12, exec_lo
	global_load_b32 v3, v[10:11], off offset:8
	s_wait_loadcnt 0x0
	v_cmpx_o_f32_e32 v3, v3
; %bb.12:
	v_sub_f32_e32 v3, v3, v6
	s_delay_alu instid0(VALU_DEP_1)
	v_cmp_gt_f32_e64 s9, 0x43480000, |v3|
	s_and_b32 s9, s9, exec_lo
; %bb.13:
	s_or_b32 exec_lo, exec_lo, s12
	s_delay_alu instid0(SALU_CYCLE_1)
	s_and_b32 s9, s9, exec_lo
.LBB0_14:
	s_or_b32 exec_lo, exec_lo, s11
	v_mad_nc_i64_i32 v[14:15], s4, 12, v[0:1]
	s_add_co_i32 s4, s5, -1
	s_delay_alu instid0(SALU_CYCLE_1)
	v_cmp_gt_i32_e32 vcc_lo, s4, v2
	s_and_saveexec_b32 s4, vcc_lo
	s_cbranch_execz .LBB0_18
; %bb.15:
	global_load_b32 v2, v[14:15], off offset:8
	s_mov_b32 s5, 0
	s_mov_b32 s10, exec_lo
	s_wait_loadcnt 0x0
	v_cmpx_o_f32_e32 v2, v2
; %bb.16:
	v_sub_f32_e32 v2, v2, v6
	s_delay_alu instid0(VALU_DEP_1)
	v_cmp_gt_f32_e64 s5, 0x43480000, |v2|
	s_and_b32 s5, s5, exec_lo
; %bb.17:
	s_or_b32 exec_lo, exec_lo, s10
	s_delay_alu instid0(SALU_CYCLE_1)
	s_and_b32 s10, s5, exec_lo
.LBB0_18:
	s_or_b32 exec_lo, exec_lo, s4
	v_cndmask_b32_e64 v11, 0, 1, s8
	v_cndmask_b32_e64 v2, 0, 1, s7
	s_mov_b32 s4, exec_lo
                                        ; implicit-def: $vgpr10
                                        ; implicit-def: $vgpr12_vgpr13
	s_delay_alu instid0(VALU_DEP_1) | instskip(NEXT) | instid1(VALU_DEP_1)
	v_and_b32_e32 v3, v2, v11
	v_and_b32_e32 v3, 1, v3
	s_delay_alu instid0(VALU_DEP_1)
	v_cmpx_eq_u32_e32 1, v3
	s_cbranch_execz .LBB0_20
; %bb.19:
	s_clause 0x1
	global_load_b96 v[16:18], v[0:1], off offset:12
	global_load_b96 v[20:22], v[0:1], off offset:-12
	s_wait_loadcnt 0x0
	v_pk_add_f32 v[12:13], v[16:17], v[20:21] neg_lo:[0,1] neg_hi:[0,1]
	v_sub_f32_e32 v10, v18, v22
.LBB0_20:
	s_or_b32 exec_lo, exec_lo, s4
	s_xor_b32 s4, s7, -1
	s_delay_alu instid0(SALU_CYCLE_1) | instskip(SKIP_1) | instid1(VALU_DEP_1)
	v_cndmask_b32_e64 v3, 0, 1, s4
	s_mov_b32 s4, exec_lo
	v_and_b32_e32 v11, v3, v11
	s_delay_alu instid0(VALU_DEP_1) | instskip(NEXT) | instid1(VALU_DEP_1)
	v_and_b32_e32 v11, 1, v11
	v_cmpx_eq_u32_e32 1, v11
	s_cbranch_execz .LBB0_22
; %bb.21:
	global_load_b96 v[16:18], v[0:1], off offset:-12
	s_wait_loadcnt 0x0
	v_pk_add_f32 v[12:13], v[4:5], v[16:17] neg_lo:[0,1] neg_hi:[0,1]
	v_sub_f32_e32 v10, v6, v18
.LBB0_22:
	s_or_b32 exec_lo, exec_lo, s4
	s_xor_b32 s4, s8, -1
	s_delay_alu instid0(SALU_CYCLE_1) | instskip(SKIP_1) | instid1(VALU_DEP_1)
	v_cndmask_b32_e64 v11, 0, 1, s4
	s_mov_b32 s4, exec_lo
	v_and_b32_e32 v2, v2, v11
	s_delay_alu instid0(VALU_DEP_1) | instskip(NEXT) | instid1(VALU_DEP_1)
	v_and_b32_e32 v2, 1, v2
	v_cmpx_eq_u32_e32 1, v2
	s_cbranch_execz .LBB0_24
; %bb.23:
	global_load_b96 v[0:2], v[0:1], off offset:12
	s_wait_loadcnt 0x0
	v_pk_add_f32 v[12:13], v[0:1], v[4:5] neg_lo:[0,1] neg_hi:[0,1]
	v_sub_f32_e32 v10, v2, v6
.LBB0_24:
	s_or_b32 exec_lo, exec_lo, s4
	v_dual_mov_b32 v3, 1.0 :: v_dual_bitop2_b32 v2, v3, v11 bitop3:0x40
	v_dual_mov_b32 v0, 0 :: v_dual_mov_b32 v1, 0
	s_delay_alu instid0(VALU_DEP_2)
	v_cmp_eq_u32_e32 vcc_lo, 0, v2
	v_mov_b32_e32 v2, 0
	s_and_saveexec_b32 s4, vcc_lo
	s_cbranch_execz .LBB0_34
; %bb.25:
	v_cndmask_b32_e64 v2, 0, 1, s10
	v_cndmask_b32_e64 v0, 0, 1, s9
	s_mov_b32 s5, exec_lo
                                        ; implicit-def: $vgpr16_vgpr17
	s_delay_alu instid0(VALU_DEP_1) | instskip(NEXT) | instid1(VALU_DEP_1)
	v_and_b32_e32 v1, v2, v0
	v_and_b32_e32 v1, 1, v1
	s_delay_alu instid0(VALU_DEP_1)
	v_cmpx_eq_u32_e32 1, v1
	s_cbranch_execz .LBB0_27
; %bb.26:
	s_clause 0x1
	global_load_b96 v[16:18], v7, s[2:3] scale_offset
	global_load_b96 v[20:22], v[14:15], off
	s_wait_loadcnt 0x0
	v_pk_add_f32 v[16:17], v[16:17], v[20:21] neg_lo:[0,1] neg_hi:[0,1]
	v_sub_f32_e32 v11, v18, v22
.LBB0_27:
	s_or_b32 exec_lo, exec_lo, s5
	s_xor_b32 s5, s9, -1
	s_delay_alu instid0(SALU_CYCLE_1) | instskip(SKIP_1) | instid1(VALU_DEP_1)
	v_cndmask_b32_e64 v1, 0, 1, s5
	s_mov_b32 s5, exec_lo
	v_and_b32_e32 v2, v2, v1
	s_delay_alu instid0(VALU_DEP_1) | instskip(NEXT) | instid1(VALU_DEP_1)
	v_and_b32_e32 v2, 1, v2
	v_cmpx_eq_u32_e32 1, v2
	s_cbranch_execz .LBB0_29
; %bb.28:
	global_load_b96 v[16:18], v[14:15], off
	s_wait_loadcnt 0x0
	v_pk_add_f32 v[16:17], v[4:5], v[16:17] neg_lo:[0,1] neg_hi:[0,1]
	v_sub_f32_e32 v11, v6, v18
.LBB0_29:
	s_or_b32 exec_lo, exec_lo, s5
	s_xor_b32 s5, s10, -1
	s_mov_b32 s10, exec_lo
	v_cndmask_b32_e64 v2, 0, 1, s5
	s_delay_alu instid0(VALU_DEP_1) | instskip(NEXT) | instid1(VALU_DEP_1)
	v_and_b32_e32 v0, v2, v0
	v_and_b32_e32 v0, 1, v0
	s_delay_alu instid0(VALU_DEP_1)
	v_cmpx_eq_u32_e32 1, v0
	s_cbranch_execz .LBB0_31
; %bb.30:
	global_load_b96 v[16:18], v7, s[2:3] scale_offset
	s_wait_loadcnt 0x0
	v_pk_add_f32 v[16:17], v[16:17], v[4:5] neg_lo:[0,1] neg_hi:[0,1]
	v_sub_f32_e32 v11, v18, v6
.LBB0_31:
	s_or_b32 exec_lo, exec_lo, s10
	v_dual_mov_b32 v3, 1.0 :: v_dual_bitop2_b32 v2, v2, v1 bitop3:0x40
	v_dual_mov_b32 v0, 0 :: v_dual_mov_b32 v1, 0
	s_delay_alu instid0(VALU_DEP_2)
	v_cmp_eq_u32_e32 vcc_lo, 0, v2
	v_mov_b32_e32 v2, 0
	s_and_saveexec_b32 s3, vcc_lo
	s_cbranch_execz .LBB0_33
; %bb.32:
	v_pk_mul_f32 v[0:1], v[12:13], v[16:17] op_sel:[0,1] op_sel_hi:[1,0]
	v_dual_mul_f32 v3, v13, v11 :: v_dual_mul_f32 v13, v10, v17
	v_mov_b32_e32 v17, v12
	v_cmp_nlt_f32_e64 s2, 0x3d23d70a, |v11|
	s_delay_alu instid0(VALU_DEP_4) | instskip(SKIP_1) | instid1(VALU_DEP_4)
	v_dual_mov_b32 v2, v0 :: v_dual_mov_b32 v12, v1
	v_mov_b32_e32 v7, v4
	v_pk_mul_f32 v[0:1], v[10:11], v[16:17]
	s_and_b32 s2, s8, s2
	v_cmp_nlt_f32_e64 s8, 0x3d23d70a, |v10|
	s_and_b32 s2, s7, s2
	v_sub_f32_e32 v14, v0, v1
	v_pk_add_f32 v[2:3], v[2:3], v[12:13] neg_lo:[0,1] neg_hi:[0,1]
	s_and_b32 s2, s9, s2
	s_delay_alu instid0(SALU_CYCLE_1) | instskip(NEXT) | instid1(VALU_DEP_1)
	s_and_b32 s2, s8, s2
	v_pk_mul_f32 v[0:1], v[2:3], v[2:3]
	s_delay_alu instid0(VALU_DEP_1) | instskip(NEXT) | instid1(VALU_DEP_1)
	v_fma_f32 v1, v14, v14, v1
	v_add_f32_e32 v0, v0, v1
	s_delay_alu instid0(VALU_DEP_1) | instskip(SKIP_1) | instid1(VALU_DEP_2)
	v_mul_f32_e32 v1, 0x4b800000, v0
	v_cmp_gt_f32_e32 vcc_lo, 0x800000, v0
	v_cndmask_b32_e32 v0, v0, v1, vcc_lo
	s_delay_alu instid0(VALU_DEP_1) | instskip(SKIP_1) | instid1(TRANS32_DEP_1)
	v_rsq_f32_e32 v0, v0
	v_nop
	v_mul_f32_e32 v1, 0x45800000, v0
	s_delay_alu instid0(VALU_DEP_1) | instskip(NEXT) | instid1(VALU_DEP_1)
	v_cndmask_b32_e32 v0, v0, v1, vcc_lo
	v_pk_mul_f32 v[12:13], v[2:3], v[0:1] op_sel_hi:[1,0]
	v_mul_f32_e32 v4, v14, v0
	s_delay_alu instid0(VALU_DEP_2) | instskip(NEXT) | instid1(VALU_DEP_1)
	v_pk_mul_f32 v[0:1], v[6:7], v[12:13]
	v_fma_f32 v1, v5, v4, v1
	s_delay_alu instid0(VALU_DEP_1) | instskip(SKIP_1) | instid1(VALU_DEP_2)
	v_add_f32_e32 v0, v0, v1
	v_cndmask_b32_e64 v1, 0, 1.0, s5
	v_cmp_lt_f32_e32 vcc_lo, 0, v0
	s_delay_alu instid0(VALU_DEP_2)
	v_dual_cndmask_b32 v3, 1.0, v1, s2 :: v_dual_cndmask_b32 v2, v12, -v12, vcc_lo
	v_dual_cndmask_b32 v0, v13, -v13, vcc_lo :: v_dual_cndmask_b32 v1, v4, -v4, vcc_lo
.LBB0_33:
	s_or_b32 exec_lo, exec_lo, s3
.LBB0_34:
	s_delay_alu instid0(SALU_CYCLE_1)
	s_or_b32 exec_lo, exec_lo, s4
.LBB0_35:
	s_delay_alu instid0(SALU_CYCLE_1)
	s_or_b32 exec_lo, exec_lo, s6
	s_load_b64 s[0:1], s[0:1], 0x8
	s_wait_kmcnt 0x0
	v_lshl_add_u64 v[4:5], v[8:9], 4, s[0:1]
	global_store_b128 v[4:5], v[0:3], off
.LBB0_36:
	s_endpgm
	.section	.rodata,"a",@progbits
	.p2align	6, 0x0
	.amdhsa_kernel _Z2nePK15HIP_vector_typeIfLj3EEPS_IfLj4EEiii
		.amdhsa_group_segment_fixed_size 0
		.amdhsa_private_segment_fixed_size 0
		.amdhsa_kernarg_size 288
		.amdhsa_user_sgpr_count 2
		.amdhsa_user_sgpr_dispatch_ptr 0
		.amdhsa_user_sgpr_queue_ptr 0
		.amdhsa_user_sgpr_kernarg_segment_ptr 1
		.amdhsa_user_sgpr_dispatch_id 0
		.amdhsa_user_sgpr_kernarg_preload_length 0
		.amdhsa_user_sgpr_kernarg_preload_offset 0
		.amdhsa_user_sgpr_private_segment_size 0
		.amdhsa_wavefront_size32 1
		.amdhsa_uses_dynamic_stack 0
		.amdhsa_enable_private_segment 0
		.amdhsa_system_sgpr_workgroup_id_x 1
		.amdhsa_system_sgpr_workgroup_id_y 0
		.amdhsa_system_sgpr_workgroup_id_z 0
		.amdhsa_system_sgpr_workgroup_info 0
		.amdhsa_system_vgpr_workitem_id 0
		.amdhsa_next_free_vgpr 23
		.amdhsa_next_free_sgpr 13
		.amdhsa_named_barrier_count 0
		.amdhsa_reserve_vcc 1
		.amdhsa_float_round_mode_32 0
		.amdhsa_float_round_mode_16_64 0
		.amdhsa_float_denorm_mode_32 3
		.amdhsa_float_denorm_mode_16_64 3
		.amdhsa_fp16_overflow 0
		.amdhsa_memory_ordered 1
		.amdhsa_forward_progress 1
		.amdhsa_inst_pref_size 13
		.amdhsa_round_robin_scheduling 0
		.amdhsa_exception_fp_ieee_invalid_op 0
		.amdhsa_exception_fp_denorm_src 0
		.amdhsa_exception_fp_ieee_div_zero 0
		.amdhsa_exception_fp_ieee_overflow 0
		.amdhsa_exception_fp_ieee_underflow 0
		.amdhsa_exception_fp_ieee_inexact 0
		.amdhsa_exception_int_div_zero 0
	.end_amdhsa_kernel
	.text
.Lfunc_end0:
	.size	_Z2nePK15HIP_vector_typeIfLj3EEPS_IfLj4EEiii, .Lfunc_end0-_Z2nePK15HIP_vector_typeIfLj3EEPS_IfLj4EEiii
                                        ; -- End function
	.set _Z2nePK15HIP_vector_typeIfLj3EEPS_IfLj4EEiii.num_vgpr, 23
	.set _Z2nePK15HIP_vector_typeIfLj3EEPS_IfLj4EEiii.num_agpr, 0
	.set _Z2nePK15HIP_vector_typeIfLj3EEPS_IfLj4EEiii.numbered_sgpr, 13
	.set _Z2nePK15HIP_vector_typeIfLj3EEPS_IfLj4EEiii.num_named_barrier, 0
	.set _Z2nePK15HIP_vector_typeIfLj3EEPS_IfLj4EEiii.private_seg_size, 0
	.set _Z2nePK15HIP_vector_typeIfLj3EEPS_IfLj4EEiii.uses_vcc, 1
	.set _Z2nePK15HIP_vector_typeIfLj3EEPS_IfLj4EEiii.uses_flat_scratch, 0
	.set _Z2nePK15HIP_vector_typeIfLj3EEPS_IfLj4EEiii.has_dyn_sized_stack, 0
	.set _Z2nePK15HIP_vector_typeIfLj3EEPS_IfLj4EEiii.has_recursion, 0
	.set _Z2nePK15HIP_vector_typeIfLj3EEPS_IfLj4EEiii.has_indirect_call, 0
	.section	.AMDGPU.csdata,"",@progbits
; Kernel info:
; codeLenInByte = 1588
; TotalNumSgprs: 15
; NumVgprs: 23
; ScratchSize: 0
; MemoryBound: 1
; FloatMode: 240
; IeeeMode: 1
; LDSByteSize: 0 bytes/workgroup (compile time only)
; SGPRBlocks: 0
; VGPRBlocks: 1
; NumSGPRsForWavesPerEU: 15
; NumVGPRsForWavesPerEU: 23
; NamedBarCnt: 0
; Occupancy: 16
; WaveLimiterHint : 0
; COMPUTE_PGM_RSRC2:SCRATCH_EN: 0
; COMPUTE_PGM_RSRC2:USER_SGPR: 2
; COMPUTE_PGM_RSRC2:TRAP_HANDLER: 0
; COMPUTE_PGM_RSRC2:TGID_X_EN: 1
; COMPUTE_PGM_RSRC2:TGID_Y_EN: 0
; COMPUTE_PGM_RSRC2:TGID_Z_EN: 0
; COMPUTE_PGM_RSRC2:TIDIG_COMP_CNT: 0
	.text
	.p2alignl 7, 3214868480
	.fill 96, 4, 3214868480
	.section	.AMDGPU.gpr_maximums,"",@progbits
	.set amdgpu.max_num_vgpr, 0
	.set amdgpu.max_num_agpr, 0
	.set amdgpu.max_num_sgpr, 0
	.text
	.type	__hip_cuid_68b10aa0695da4,@object ; @__hip_cuid_68b10aa0695da4
	.section	.bss,"aw",@nobits
	.globl	__hip_cuid_68b10aa0695da4
__hip_cuid_68b10aa0695da4:
	.byte	0                               ; 0x0
	.size	__hip_cuid_68b10aa0695da4, 1

	.ident	"AMD clang version 22.0.0git (https://github.com/RadeonOpenCompute/llvm-project roc-7.2.4 26084 f58b06dce1f9c15707c5f808fd002e18c2accf7e)"
	.section	".note.GNU-stack","",@progbits
	.addrsig
	.addrsig_sym __hip_cuid_68b10aa0695da4
	.amdgpu_metadata
---
amdhsa.kernels:
  - .args:
      - .actual_access:  read_only
        .address_space:  global
        .offset:         0
        .size:           8
        .value_kind:     global_buffer
      - .actual_access:  write_only
        .address_space:  global
        .offset:         8
        .size:           8
        .value_kind:     global_buffer
      - .offset:         16
        .size:           4
        .value_kind:     by_value
      - .offset:         20
        .size:           4
        .value_kind:     by_value
      - .offset:         24
        .size:           4
        .value_kind:     by_value
      - .offset:         32
        .size:           4
        .value_kind:     hidden_block_count_x
      - .offset:         36
        .size:           4
        .value_kind:     hidden_block_count_y
      - .offset:         40
        .size:           4
        .value_kind:     hidden_block_count_z
      - .offset:         44
        .size:           2
        .value_kind:     hidden_group_size_x
      - .offset:         46
        .size:           2
        .value_kind:     hidden_group_size_y
      - .offset:         48
        .size:           2
        .value_kind:     hidden_group_size_z
      - .offset:         50
        .size:           2
        .value_kind:     hidden_remainder_x
      - .offset:         52
        .size:           2
        .value_kind:     hidden_remainder_y
      - .offset:         54
        .size:           2
        .value_kind:     hidden_remainder_z
      - .offset:         72
        .size:           8
        .value_kind:     hidden_global_offset_x
      - .offset:         80
        .size:           8
        .value_kind:     hidden_global_offset_y
      - .offset:         88
        .size:           8
        .value_kind:     hidden_global_offset_z
      - .offset:         96
        .size:           2
        .value_kind:     hidden_grid_dims
    .group_segment_fixed_size: 0
    .kernarg_segment_align: 8
    .kernarg_segment_size: 288
    .language:       OpenCL C
    .language_version:
      - 2
      - 0
    .max_flat_workgroup_size: 1024
    .name:           _Z2nePK15HIP_vector_typeIfLj3EEPS_IfLj4EEiii
    .private_segment_fixed_size: 0
    .sgpr_count:     15
    .sgpr_spill_count: 0
    .symbol:         _Z2nePK15HIP_vector_typeIfLj3EEPS_IfLj4EEiii.kd
    .uniform_work_group_size: 1
    .uses_dynamic_stack: false
    .vgpr_count:     23
    .vgpr_spill_count: 0
    .wavefront_size: 32
amdhsa.target:   amdgcn-amd-amdhsa--gfx1250
amdhsa.version:
  - 1
  - 2
...

	.end_amdgpu_metadata
